;; amdgpu-corpus repo=zjin-lcf/HeCBench kind=compiled arch=gfx942 opt=O3
	.text
	.amdgcn_target "amdgcn-amd-amdhsa--gfx942"
	.amdhsa_code_object_version 6
	.protected	_Z7softMaxiiPKfPf       ; -- Begin function _Z7softMaxiiPKfPf
	.globl	_Z7softMaxiiPKfPf
	.p2align	8
	.type	_Z7softMaxiiPKfPf,@function
_Z7softMaxiiPKfPf:                      ; @_Z7softMaxiiPKfPf
; %bb.0:
	s_load_dword s3, s[0:1], 0x24
	s_load_dwordx2 s[4:5], s[0:1], 0x0
	s_waitcnt lgkmcnt(0)
	s_and_b32 s3, s3, 0xffff
	s_mul_i32 s2, s2, s3
	v_add_u32_e32 v0, s2, v0
	v_cmp_gt_i32_e32 vcc, s4, v0
	s_and_saveexec_b64 s[2:3], vcc
	s_cbranch_execz .LBB0_10
; %bb.1:
	s_load_dwordx4 s[0:3], s[0:1], 0x8
	v_mul_lo_u32 v2, v0, s5
	v_ashrrev_i32_e32 v3, 31, v2
	s_cmp_gt_i32 s5, 0
	s_cselect_b64 s[6:7], -1, 0
	s_waitcnt lgkmcnt(0)
	v_mov_b32_e32 v0, s0
	v_mov_b32_e32 v1, s1
	v_lshl_add_u64 v[0:1], v[2:3], 2, v[0:1]
	global_load_dword v6, v[0:1], off
	s_cmp_lt_i32 s5, 1
	s_cbranch_scc1 .LBB0_4
; %bb.2:
	s_mov_b32 s0, s5
	v_mov_b64_e32 v[4:5], v[0:1]
.LBB0_3:                                ; =>This Inner Loop Header: Depth=1
	global_load_dword v7, v[4:5], off
	s_waitcnt vmcnt(1)
	v_max_f32_e32 v6, v6, v6
	s_add_i32 s0, s0, -1
	v_lshl_add_u64 v[4:5], v[4:5], 0, 4
	s_cmp_eq_u32 s0, 0
	s_waitcnt vmcnt(0)
	v_max_f32_e32 v7, v7, v7
	v_max_f32_e32 v6, v6, v7
	s_cbranch_scc0 .LBB0_3
.LBB0_4:
	v_cndmask_b32_e64 v4, 0, 1, s[6:7]
	v_cmp_ne_u32_e64 s[0:1], 1, v4
	v_mov_b32_e32 v7, 0
	s_andn2_b64 vcc, exec, s[6:7]
	s_cbranch_vccnz .LBB0_7
; %bb.5:
	s_mov_b32 s4, 0x3fb8aa3b
	s_mov_b32 s6, 0xc2ce8ed0
	;; [unrolled: 1-line block ×3, first 2 shown]
	v_mov_b32_e32 v8, 0x7f800000
	s_mov_b32 s8, s5
	v_mov_b64_e32 v[4:5], v[0:1]
.LBB0_6:                                ; =>This Inner Loop Header: Depth=1
	global_load_dword v9, v[4:5], off
	s_add_i32 s8, s8, -1
	v_lshl_add_u64 v[4:5], v[4:5], 0, 4
	s_cmp_eq_u32 s8, 0
	s_waitcnt vmcnt(0)
	v_sub_f32_e32 v9, v9, v6
	v_mul_f32_e32 v10, 0x3fb8aa3b, v9
	v_fma_f32 v11, v9, s4, -v10
	v_rndne_f32_e32 v12, v10
	v_fmac_f32_e32 v11, 0x32a5705f, v9
	v_sub_f32_e32 v10, v10, v12
	v_add_f32_e32 v10, v10, v11
	v_cvt_i32_f32_e32 v12, v12
	v_exp_f32_e32 v10, v10
	v_cmp_ngt_f32_e32 vcc, s6, v9
	v_ldexp_f32 v10, v10, v12
	s_nop 0
	v_cndmask_b32_e32 v10, 0, v10, vcc
	v_cmp_nlt_f32_e32 vcc, s7, v9
	s_nop 1
	v_cndmask_b32_e32 v9, v8, v10, vcc
	v_add_f32_e32 v7, v7, v9
	s_cbranch_scc0 .LBB0_6
.LBB0_7:
	s_and_b64 vcc, exec, s[0:1]
	s_cbranch_vccnz .LBB0_10
; %bb.8:
	v_mov_b32_e32 v4, s2
	v_mov_b32_e32 v5, s3
	v_lshl_add_u64 v[2:3], v[2:3], 2, v[4:5]
	s_mov_b32 s0, 0x3fb8aa3b
	s_mov_b32 s1, 0xc2ce8ed0
	;; [unrolled: 1-line block ×3, first 2 shown]
	v_mov_b32_e32 v4, 0x7f800000
.LBB0_9:                                ; =>This Inner Loop Header: Depth=1
	global_load_dword v5, v[0:1], off
	s_add_i32 s5, s5, -1
	v_lshl_add_u64 v[0:1], v[0:1], 0, 4
	s_cmp_lg_u32 s5, 0
	s_waitcnt vmcnt(0)
	v_sub_f32_e32 v5, v5, v6
	v_mul_f32_e32 v8, 0x3fb8aa3b, v5
	v_fma_f32 v9, v5, s0, -v8
	v_rndne_f32_e32 v10, v8
	v_fmac_f32_e32 v9, 0x32a5705f, v5
	v_sub_f32_e32 v8, v8, v10
	v_add_f32_e32 v8, v8, v9
	v_cvt_i32_f32_e32 v10, v10
	v_exp_f32_e32 v8, v8
	v_cmp_ngt_f32_e32 vcc, s1, v5
	v_ldexp_f32 v8, v8, v10
	s_nop 0
	v_cndmask_b32_e32 v8, 0, v8, vcc
	v_cmp_nlt_f32_e32 vcc, s2, v5
	s_nop 1
	v_cndmask_b32_e32 v5, v4, v8, vcc
	v_div_scale_f32 v8, s[6:7], v7, v7, v5
	v_rcp_f32_e32 v9, v8
	v_div_scale_f32 v10, vcc, v5, v7, v5
	v_fma_f32 v11, -v8, v9, 1.0
	v_fmac_f32_e32 v9, v11, v9
	v_mul_f32_e32 v11, v10, v9
	v_fma_f32 v12, -v8, v11, v10
	v_fmac_f32_e32 v11, v12, v9
	v_fma_f32 v8, -v8, v11, v10
	v_div_fmas_f32 v8, v8, v9, v11
	v_div_fixup_f32 v5, v8, v7, v5
	global_store_dword v[2:3], v5, off
	v_lshl_add_u64 v[2:3], v[2:3], 0, 4
	s_cbranch_scc1 .LBB0_9
.LBB0_10:
	s_endpgm
	.section	.rodata,"a",@progbits
	.p2align	6, 0x0
	.amdhsa_kernel _Z7softMaxiiPKfPf
		.amdhsa_group_segment_fixed_size 0
		.amdhsa_private_segment_fixed_size 0
		.amdhsa_kernarg_size 280
		.amdhsa_user_sgpr_count 2
		.amdhsa_user_sgpr_dispatch_ptr 0
		.amdhsa_user_sgpr_queue_ptr 0
		.amdhsa_user_sgpr_kernarg_segment_ptr 1
		.amdhsa_user_sgpr_dispatch_id 0
		.amdhsa_user_sgpr_kernarg_preload_length 0
		.amdhsa_user_sgpr_kernarg_preload_offset 0
		.amdhsa_user_sgpr_private_segment_size 0
		.amdhsa_uses_dynamic_stack 0
		.amdhsa_enable_private_segment 0
		.amdhsa_system_sgpr_workgroup_id_x 1
		.amdhsa_system_sgpr_workgroup_id_y 0
		.amdhsa_system_sgpr_workgroup_id_z 0
		.amdhsa_system_sgpr_workgroup_info 0
		.amdhsa_system_vgpr_workitem_id 0
		.amdhsa_next_free_vgpr 13
		.amdhsa_next_free_sgpr 9
		.amdhsa_accum_offset 16
		.amdhsa_reserve_vcc 1
		.amdhsa_float_round_mode_32 0
		.amdhsa_float_round_mode_16_64 0
		.amdhsa_float_denorm_mode_32 3
		.amdhsa_float_denorm_mode_16_64 3
		.amdhsa_dx10_clamp 1
		.amdhsa_ieee_mode 1
		.amdhsa_fp16_overflow 0
		.amdhsa_tg_split 0
		.amdhsa_exception_fp_ieee_invalid_op 0
		.amdhsa_exception_fp_denorm_src 0
		.amdhsa_exception_fp_ieee_div_zero 0
		.amdhsa_exception_fp_ieee_overflow 0
		.amdhsa_exception_fp_ieee_underflow 0
		.amdhsa_exception_fp_ieee_inexact 0
		.amdhsa_exception_int_div_zero 0
	.end_amdhsa_kernel
	.text
.Lfunc_end0:
	.size	_Z7softMaxiiPKfPf, .Lfunc_end0-_Z7softMaxiiPKfPf
                                        ; -- End function
	.section	.AMDGPU.csdata,"",@progbits
; Kernel info:
; codeLenInByte = 612
; NumSgprs: 15
; NumVgprs: 13
; NumAgprs: 0
; TotalNumVgprs: 13
; ScratchSize: 0
; MemoryBound: 0
; FloatMode: 240
; IeeeMode: 1
; LDSByteSize: 0 bytes/workgroup (compile time only)
; SGPRBlocks: 1
; VGPRBlocks: 1
; NumSGPRsForWavesPerEU: 15
; NumVGPRsForWavesPerEU: 13
; AccumOffset: 16
; Occupancy: 8
; WaveLimiterHint : 0
; COMPUTE_PGM_RSRC2:SCRATCH_EN: 0
; COMPUTE_PGM_RSRC2:USER_SGPR: 2
; COMPUTE_PGM_RSRC2:TRAP_HANDLER: 0
; COMPUTE_PGM_RSRC2:TGID_X_EN: 1
; COMPUTE_PGM_RSRC2:TGID_Y_EN: 0
; COMPUTE_PGM_RSRC2:TGID_Z_EN: 0
; COMPUTE_PGM_RSRC2:TIDIG_COMP_CNT: 0
; COMPUTE_PGM_RSRC3_GFX90A:ACCUM_OFFSET: 3
; COMPUTE_PGM_RSRC3_GFX90A:TG_SPLIT: 0
	.text
	.protected	_Z8softMax2iiPKfPf      ; -- Begin function _Z8softMax2iiPKfPf
	.globl	_Z8softMax2iiPKfPf
	.p2align	8
	.type	_Z8softMax2iiPKfPf,@function
_Z8softMax2iiPKfPf:                     ; @_Z8softMax2iiPKfPf
; %bb.0:
	s_load_dwordx2 s[10:11], s[0:1], 0x24
	s_load_dwordx2 s[8:9], s[0:1], 0x0
	v_bfe_u32 v1, v0, 10, 10
	v_bfe_u32 v2, v0, 20, 10
	s_waitcnt lgkmcnt(0)
	s_lshr_b32 s4, s10, 16
	s_and_b32 s5, s10, 0xffff
	s_and_b32 s3, s11, 0xffff
	s_mul_i32 s6, s4, s5
	s_mul_i32 s3, s6, s3
	v_mad_u32_u24 v3, v2, s4, v1
	v_and_b32_e32 v2, 0x3ff, v0
	s_add_i32 s3, s3, 63
	v_mad_u64_u32 v[4:5], s[4:5], v3, s5, v[2:3]
	s_lshr_b32 s3, s3, 6
	v_lshrrev_b32_e32 v0, 6, v4
	s_mul_i32 s3, s3, s2
	v_add_u32_e32 v0, s3, v0
	v_cmp_gt_i32_e32 vcc, s8, v0
	s_and_saveexec_b64 s[2:3], vcc
	s_cbranch_execz .LBB1_12
; %bb.1:
	s_load_dwordx4 s[4:7], s[0:1], 0x8
	v_mul_lo_u32 v0, v0, s9
	v_ashrrev_i32_e32 v1, 31, v0
	s_waitcnt lgkmcnt(0)
	v_lshl_add_u64 v[6:7], v[0:1], 2, s[4:5]
	global_load_dword v5, v[6:7], off
	v_and_b32_e32 v6, 63, v4
	v_cmp_gt_i32_e32 vcc, s9, v6
	v_mad_legacy_u16 v7, s10, v3, v2
	s_and_saveexec_b64 s[2:3], vcc
	s_cbranch_execz .LBB1_5
; %bb.2:
	v_and_b32_e32 v2, 63, v7
	v_lshlrev_b32_e32 v2, 2, v2
	v_mov_b32_e32 v3, 0
	v_lshl_add_u64 v[2:3], v[0:1], 2, v[2:3]
	v_lshl_add_u64 v[2:3], s[4:5], 0, v[2:3]
	s_mov_b64 s[10:11], 0
	s_mov_b64 s[12:13], 0x100
	v_mov_b32_e32 v4, v6
.LBB1_3:                                ; =>This Inner Loop Header: Depth=1
	global_load_dword v8, v[2:3], off
	v_add_u32_e32 v4, 64, v4
	s_waitcnt vmcnt(1)
	v_max_f32_e32 v5, v5, v5
	v_cmp_le_i32_e64 s[0:1], s9, v4
	v_lshl_add_u64 v[2:3], v[2:3], 0, s[12:13]
	s_or_b64 s[10:11], s[0:1], s[10:11]
	s_waitcnt vmcnt(0)
	v_max_f32_e32 v8, v8, v8
	v_max_f32_e32 v5, v5, v8
	s_andn2_b64 exec, exec, s[10:11]
	s_cbranch_execnz .LBB1_3
; %bb.4:
	s_or_b64 exec, exec, s[10:11]
.LBB1_5:
	s_or_b64 exec, exec, s[2:3]
	v_mbcnt_lo_u32_b32 v2, -1, 0
	v_mbcnt_hi_u32_b32 v2, -1, v2
	v_and_b32_e32 v3, 64, v2
	v_add_u32_e32 v3, 64, v3
	v_xor_b32_e32 v4, 32, v2
	v_cmp_lt_i32_e64 s[0:1], v4, v3
	v_xor_b32_e32 v8, 16, v2
	s_nop 0
	v_cndmask_b32_e64 v4, v2, v4, s[0:1]
	v_lshlrev_b32_e32 v9, 2, v4
	s_waitcnt vmcnt(0)
	ds_bpermute_b32 v4, v9, v5
	v_max_f32_e32 v5, v5, v5
	v_cmp_lt_i32_e64 s[0:1], v8, v3
	s_waitcnt lgkmcnt(0)
	v_max_f32_e32 v4, v4, v4
	v_max_f32_e32 v4, v5, v4
	v_cndmask_b32_e64 v5, v2, v8, s[0:1]
	v_lshlrev_b32_e32 v10, 2, v5
	ds_bpermute_b32 v5, v10, v4
	v_xor_b32_e32 v8, 8, v2
	v_cmp_lt_i32_e64 s[0:1], v8, v3
	s_waitcnt lgkmcnt(0)
	v_max_f32_e32 v5, v5, v5
	v_max_f32_e32 v4, v4, v5
	v_cndmask_b32_e64 v5, v2, v8, s[0:1]
	v_lshlrev_b32_e32 v11, 2, v5
	ds_bpermute_b32 v5, v11, v4
	v_xor_b32_e32 v8, 4, v2
	;; [unrolled: 8-line block ×4, first 2 shown]
	v_cmp_lt_i32_e64 s[0:1], v8, v3
	v_mov_b32_e32 v3, 0
	s_waitcnt lgkmcnt(0)
	v_max_f32_e32 v5, v5, v5
	v_cndmask_b32_e64 v2, v2, v8, s[0:1]
	v_max_f32_e32 v4, v4, v5
	v_lshlrev_b32_e32 v14, 2, v2
	ds_bpermute_b32 v2, v14, v4
	s_waitcnt lgkmcnt(0)
	v_max_f32_e32 v2, v2, v2
	v_max_f32_e32 v8, v4, v2
	s_and_saveexec_b64 s[2:3], vcc
	s_cbranch_execz .LBB1_9
; %bb.6:
	v_and_b32_e32 v2, 63, v7
	v_lshlrev_b32_e32 v2, 2, v2
	v_mov_b32_e32 v3, 0
	v_lshl_add_u64 v[4:5], v[0:1], 2, v[2:3]
	v_lshl_add_u64 v[4:5], s[4:5], 0, v[4:5]
	s_mov_b64 s[10:11], 0
	s_mov_b32 s8, 0x3fb8aa3b
	s_mov_b32 s14, 0xc2ce8ed0
	;; [unrolled: 1-line block ×3, first 2 shown]
	v_mov_b32_e32 v2, 0x7f800000
	s_mov_b64 s[12:13], 0x100
	v_mov_b32_e32 v15, v6
.LBB1_7:                                ; =>This Inner Loop Header: Depth=1
	global_load_dword v16, v[4:5], off
	v_add_u32_e32 v15, 64, v15
	v_cmp_le_i32_e64 s[0:1], s9, v15
	s_or_b64 s[10:11], s[0:1], s[10:11]
	v_lshl_add_u64 v[4:5], v[4:5], 0, s[12:13]
	s_waitcnt vmcnt(0)
	v_sub_f32_e32 v16, v16, v8
	v_mul_f32_e32 v17, 0x3fb8aa3b, v16
	v_fma_f32 v18, v16, s8, -v17
	v_rndne_f32_e32 v19, v17
	v_fmac_f32_e32 v18, 0x32a5705f, v16
	v_sub_f32_e32 v17, v17, v19
	v_add_f32_e32 v17, v17, v18
	v_cvt_i32_f32_e32 v19, v19
	v_exp_f32_e32 v17, v17
	v_cmp_ngt_f32_e64 s[0:1], s14, v16
	v_ldexp_f32 v17, v17, v19
	s_nop 0
	v_cndmask_b32_e64 v17, 0, v17, s[0:1]
	v_cmp_nlt_f32_e64 s[0:1], s15, v16
	s_nop 1
	v_cndmask_b32_e64 v16, v2, v17, s[0:1]
	v_add_f32_e32 v3, v3, v16
	s_andn2_b64 exec, exec, s[10:11]
	s_cbranch_execnz .LBB1_7
; %bb.8:
	s_or_b64 exec, exec, s[10:11]
.LBB1_9:
	s_or_b64 exec, exec, s[2:3]
	ds_bpermute_b32 v2, v9, v3
	s_waitcnt lgkmcnt(0)
	v_add_f32_e32 v2, v3, v2
	ds_bpermute_b32 v3, v10, v2
	s_waitcnt lgkmcnt(0)
	v_add_f32_e32 v2, v2, v3
	;; [unrolled: 3-line block ×5, first 2 shown]
	ds_bpermute_b32 v3, v14, v2
	s_and_b64 exec, exec, vcc
	s_cbranch_execz .LBB1_12
; %bb.10:
	s_waitcnt lgkmcnt(0)
	v_add_f32_e32 v4, v2, v3
	v_and_b32_e32 v2, 63, v7
	v_lshlrev_b32_e32 v2, 2, v2
	v_mov_b32_e32 v3, 0
	v_lshl_add_u64 v[2:3], v[0:1], 2, v[2:3]
	v_add_u32_e32 v0, v0, v6
	v_mov_b32_e32 v10, s6
	v_mov_b32_e32 v11, s7
	v_ashrrev_i32_e32 v1, 31, v0
	v_lshl_add_u64 v[2:3], s[4:5], 0, v[2:3]
	v_lshl_add_u64 v[0:1], v[0:1], 2, v[10:11]
	s_mov_b64 s[0:1], 0
	s_mov_b32 s4, 0x3fb8aa3b
	s_mov_b32 s5, 0xc2ce8ed0
	;; [unrolled: 1-line block ×3, first 2 shown]
	v_mov_b32_e32 v5, 0x7f800000
	s_mov_b64 s[2:3], 0x100
.LBB1_11:                               ; =>This Inner Loop Header: Depth=1
	global_load_dword v7, v[2:3], off
	v_add_u32_e32 v6, 64, v6
	v_cmp_le_i32_e32 vcc, s9, v6
	s_or_b64 s[0:1], vcc, s[0:1]
	v_lshl_add_u64 v[2:3], v[2:3], 0, s[2:3]
	s_waitcnt vmcnt(0)
	v_sub_f32_e32 v7, v7, v8
	v_mul_f32_e32 v9, 0x3fb8aa3b, v7
	v_fma_f32 v10, v7, s4, -v9
	v_rndne_f32_e32 v11, v9
	v_fmac_f32_e32 v10, 0x32a5705f, v7
	v_sub_f32_e32 v9, v9, v11
	v_add_f32_e32 v9, v9, v10
	v_cvt_i32_f32_e32 v11, v11
	v_exp_f32_e32 v9, v9
	v_cmp_ngt_f32_e32 vcc, s5, v7
	v_ldexp_f32 v9, v9, v11
	s_nop 0
	v_cndmask_b32_e32 v9, 0, v9, vcc
	v_cmp_nlt_f32_e32 vcc, s6, v7
	s_nop 1
	v_cndmask_b32_e32 v7, v5, v9, vcc
	v_div_scale_f32 v9, s[10:11], v4, v4, v7
	v_rcp_f32_e32 v10, v9
	v_div_scale_f32 v11, vcc, v7, v4, v7
	v_fma_f32 v12, -v9, v10, 1.0
	v_fmac_f32_e32 v10, v12, v10
	v_mul_f32_e32 v12, v11, v10
	v_fma_f32 v13, -v9, v12, v11
	v_fmac_f32_e32 v12, v13, v10
	v_fma_f32 v9, -v9, v12, v11
	v_div_fmas_f32 v9, v9, v10, v12
	v_div_fixup_f32 v7, v9, v4, v7
	global_store_dword v[0:1], v7, off
	v_lshl_add_u64 v[0:1], v[0:1], 0, s[2:3]
	s_andn2_b64 exec, exec, s[0:1]
	s_cbranch_execnz .LBB1_11
.LBB1_12:
	s_endpgm
	.section	.rodata,"a",@progbits
	.p2align	6, 0x0
	.amdhsa_kernel _Z8softMax2iiPKfPf
		.amdhsa_group_segment_fixed_size 0
		.amdhsa_private_segment_fixed_size 0
		.amdhsa_kernarg_size 280
		.amdhsa_user_sgpr_count 2
		.amdhsa_user_sgpr_dispatch_ptr 0
		.amdhsa_user_sgpr_queue_ptr 0
		.amdhsa_user_sgpr_kernarg_segment_ptr 1
		.amdhsa_user_sgpr_dispatch_id 0
		.amdhsa_user_sgpr_kernarg_preload_length 0
		.amdhsa_user_sgpr_kernarg_preload_offset 0
		.amdhsa_user_sgpr_private_segment_size 0
		.amdhsa_uses_dynamic_stack 0
		.amdhsa_enable_private_segment 0
		.amdhsa_system_sgpr_workgroup_id_x 1
		.amdhsa_system_sgpr_workgroup_id_y 0
		.amdhsa_system_sgpr_workgroup_id_z 0
		.amdhsa_system_sgpr_workgroup_info 0
		.amdhsa_system_vgpr_workitem_id 2
		.amdhsa_next_free_vgpr 20
		.amdhsa_next_free_sgpr 16
		.amdhsa_accum_offset 20
		.amdhsa_reserve_vcc 1
		.amdhsa_float_round_mode_32 0
		.amdhsa_float_round_mode_16_64 0
		.amdhsa_float_denorm_mode_32 3
		.amdhsa_float_denorm_mode_16_64 3
		.amdhsa_dx10_clamp 1
		.amdhsa_ieee_mode 1
		.amdhsa_fp16_overflow 0
		.amdhsa_tg_split 0
		.amdhsa_exception_fp_ieee_invalid_op 0
		.amdhsa_exception_fp_denorm_src 0
		.amdhsa_exception_fp_ieee_div_zero 0
		.amdhsa_exception_fp_ieee_overflow 0
		.amdhsa_exception_fp_ieee_underflow 0
		.amdhsa_exception_fp_ieee_inexact 0
		.amdhsa_exception_int_div_zero 0
	.end_amdhsa_kernel
	.text
.Lfunc_end1:
	.size	_Z8softMax2iiPKfPf, .Lfunc_end1-_Z8softMax2iiPKfPf
                                        ; -- End function
	.section	.AMDGPU.csdata,"",@progbits
; Kernel info:
; codeLenInByte = 1248
; NumSgprs: 22
; NumVgprs: 20
; NumAgprs: 0
; TotalNumVgprs: 20
; ScratchSize: 0
; MemoryBound: 0
; FloatMode: 240
; IeeeMode: 1
; LDSByteSize: 0 bytes/workgroup (compile time only)
; SGPRBlocks: 2
; VGPRBlocks: 2
; NumSGPRsForWavesPerEU: 22
; NumVGPRsForWavesPerEU: 20
; AccumOffset: 20
; Occupancy: 8
; WaveLimiterHint : 0
; COMPUTE_PGM_RSRC2:SCRATCH_EN: 0
; COMPUTE_PGM_RSRC2:USER_SGPR: 2
; COMPUTE_PGM_RSRC2:TRAP_HANDLER: 0
; COMPUTE_PGM_RSRC2:TGID_X_EN: 1
; COMPUTE_PGM_RSRC2:TGID_Y_EN: 0
; COMPUTE_PGM_RSRC2:TGID_Z_EN: 0
; COMPUTE_PGM_RSRC2:TIDIG_COMP_CNT: 2
; COMPUTE_PGM_RSRC3_GFX90A:ACCUM_OFFSET: 4
; COMPUTE_PGM_RSRC3_GFX90A:TG_SPLIT: 0
	.text
	.p2alignl 6, 3212836864
	.fill 256, 4, 3212836864
	.type	__hip_cuid_16902727ce171694,@object ; @__hip_cuid_16902727ce171694
	.section	.bss,"aw",@nobits
	.globl	__hip_cuid_16902727ce171694
__hip_cuid_16902727ce171694:
	.byte	0                               ; 0x0
	.size	__hip_cuid_16902727ce171694, 1

	.ident	"AMD clang version 19.0.0git (https://github.com/RadeonOpenCompute/llvm-project roc-6.4.0 25133 c7fe45cf4b819c5991fe208aaa96edf142730f1d)"
	.section	".note.GNU-stack","",@progbits
	.addrsig
	.addrsig_sym __hip_cuid_16902727ce171694
	.amdgpu_metadata
---
amdhsa.kernels:
  - .agpr_count:     0
    .args:
      - .offset:         0
        .size:           4
        .value_kind:     by_value
      - .offset:         4
        .size:           4
        .value_kind:     by_value
      - .address_space:  global
        .offset:         8
        .size:           8
        .value_kind:     global_buffer
      - .address_space:  global
        .offset:         16
        .size:           8
        .value_kind:     global_buffer
      - .offset:         24
        .size:           4
        .value_kind:     hidden_block_count_x
      - .offset:         28
        .size:           4
        .value_kind:     hidden_block_count_y
      - .offset:         32
        .size:           4
        .value_kind:     hidden_block_count_z
      - .offset:         36
        .size:           2
        .value_kind:     hidden_group_size_x
      - .offset:         38
        .size:           2
        .value_kind:     hidden_group_size_y
      - .offset:         40
        .size:           2
        .value_kind:     hidden_group_size_z
      - .offset:         42
        .size:           2
        .value_kind:     hidden_remainder_x
      - .offset:         44
        .size:           2
        .value_kind:     hidden_remainder_y
      - .offset:         46
        .size:           2
        .value_kind:     hidden_remainder_z
      - .offset:         64
        .size:           8
        .value_kind:     hidden_global_offset_x
      - .offset:         72
        .size:           8
        .value_kind:     hidden_global_offset_y
      - .offset:         80
        .size:           8
        .value_kind:     hidden_global_offset_z
      - .offset:         88
        .size:           2
        .value_kind:     hidden_grid_dims
    .group_segment_fixed_size: 0
    .kernarg_segment_align: 8
    .kernarg_segment_size: 280
    .language:       OpenCL C
    .language_version:
      - 2
      - 0
    .max_flat_workgroup_size: 1024
    .name:           _Z7softMaxiiPKfPf
    .private_segment_fixed_size: 0
    .sgpr_count:     15
    .sgpr_spill_count: 0
    .symbol:         _Z7softMaxiiPKfPf.kd
    .uniform_work_group_size: 1
    .uses_dynamic_stack: false
    .vgpr_count:     13
    .vgpr_spill_count: 0
    .wavefront_size: 64
  - .agpr_count:     0
    .args:
      - .offset:         0
        .size:           4
        .value_kind:     by_value
      - .offset:         4
        .size:           4
        .value_kind:     by_value
      - .address_space:  global
        .offset:         8
        .size:           8
        .value_kind:     global_buffer
      - .address_space:  global
        .offset:         16
        .size:           8
        .value_kind:     global_buffer
      - .offset:         24
        .size:           4
        .value_kind:     hidden_block_count_x
      - .offset:         28
        .size:           4
        .value_kind:     hidden_block_count_y
      - .offset:         32
        .size:           4
        .value_kind:     hidden_block_count_z
      - .offset:         36
        .size:           2
        .value_kind:     hidden_group_size_x
      - .offset:         38
        .size:           2
        .value_kind:     hidden_group_size_y
      - .offset:         40
        .size:           2
        .value_kind:     hidden_group_size_z
      - .offset:         42
        .size:           2
        .value_kind:     hidden_remainder_x
      - .offset:         44
        .size:           2
        .value_kind:     hidden_remainder_y
      - .offset:         46
        .size:           2
        .value_kind:     hidden_remainder_z
      - .offset:         64
        .size:           8
        .value_kind:     hidden_global_offset_x
      - .offset:         72
        .size:           8
        .value_kind:     hidden_global_offset_y
      - .offset:         80
        .size:           8
        .value_kind:     hidden_global_offset_z
      - .offset:         88
        .size:           2
        .value_kind:     hidden_grid_dims
    .group_segment_fixed_size: 0
    .kernarg_segment_align: 8
    .kernarg_segment_size: 280
    .language:       OpenCL C
    .language_version:
      - 2
      - 0
    .max_flat_workgroup_size: 1024
    .name:           _Z8softMax2iiPKfPf
    .private_segment_fixed_size: 0
    .sgpr_count:     22
    .sgpr_spill_count: 0
    .symbol:         _Z8softMax2iiPKfPf.kd
    .uniform_work_group_size: 1
    .uses_dynamic_stack: false
    .vgpr_count:     20
    .vgpr_spill_count: 0
    .wavefront_size: 64
amdhsa.target:   amdgcn-amd-amdhsa--gfx942
amdhsa.version:
  - 1
  - 2
...

	.end_amdgpu_metadata
